;; amdgpu-corpus repo=ROCm/rocFFT kind=compiled arch=gfx1030 opt=O3
	.text
	.amdgcn_target "amdgcn-amd-amdhsa--gfx1030"
	.amdhsa_code_object_version 6
	.protected	fft_rtc_fwd_len500_factors_10_5_10_wgs_100_tpt_100_halfLds_half_op_CI_CI_sbrr_dirReg ; -- Begin function fft_rtc_fwd_len500_factors_10_5_10_wgs_100_tpt_100_halfLds_half_op_CI_CI_sbrr_dirReg
	.globl	fft_rtc_fwd_len500_factors_10_5_10_wgs_100_tpt_100_halfLds_half_op_CI_CI_sbrr_dirReg
	.p2align	8
	.type	fft_rtc_fwd_len500_factors_10_5_10_wgs_100_tpt_100_halfLds_half_op_CI_CI_sbrr_dirReg,@function
fft_rtc_fwd_len500_factors_10_5_10_wgs_100_tpt_100_halfLds_half_op_CI_CI_sbrr_dirReg: ; @fft_rtc_fwd_len500_factors_10_5_10_wgs_100_tpt_100_halfLds_half_op_CI_CI_sbrr_dirReg
; %bb.0:
	s_clause 0x2
	s_load_dwordx4 s[16:19], s[4:5], 0x18
	s_load_dwordx4 s[12:15], s[4:5], 0x0
	;; [unrolled: 1-line block ×3, first 2 shown]
	v_mul_u32_u24_e32 v1, 0x290, v0
	v_mov_b32_e32 v8, 0
	s_waitcnt lgkmcnt(0)
	s_load_dwordx2 s[20:21], s[16:17], 0x0
	s_load_dwordx2 s[2:3], s[18:19], 0x0
	v_cmp_lt_u64_e64 s0, s[14:15], 2
	v_add_nc_u32_sdwa v10, s6, v1 dst_sel:DWORD dst_unused:UNUSED_PAD src0_sel:DWORD src1_sel:WORD_1
	v_mov_b32_e32 v1, 0
	v_mov_b32_e32 v11, v8
	;; [unrolled: 1-line block ×3, first 2 shown]
	s_and_b32 vcc_lo, exec_lo, s0
	s_cbranch_vccnz .LBB0_8
; %bb.1:
	s_load_dwordx2 s[0:1], s[4:5], 0x10
	v_mov_b32_e32 v1, 0
	v_mov_b32_e32 v2, 0
	s_add_u32 s6, s18, 8
	s_addc_u32 s7, s19, 0
	s_add_u32 s22, s16, 8
	s_addc_u32 s23, s17, 0
	v_mov_b32_e32 v5, v2
	v_mov_b32_e32 v4, v1
	s_mov_b64 s[26:27], 1
	s_waitcnt lgkmcnt(0)
	s_add_u32 s24, s0, 8
	s_addc_u32 s25, s1, 0
.LBB0_2:                                ; =>This Inner Loop Header: Depth=1
	s_load_dwordx2 s[28:29], s[24:25], 0x0
                                        ; implicit-def: $vgpr6_vgpr7
	s_mov_b32 s0, exec_lo
	s_waitcnt lgkmcnt(0)
	v_or_b32_e32 v9, s29, v11
	v_cmpx_ne_u64_e32 0, v[8:9]
	s_xor_b32 s1, exec_lo, s0
	s_cbranch_execz .LBB0_4
; %bb.3:                                ;   in Loop: Header=BB0_2 Depth=1
	v_cvt_f32_u32_e32 v3, s28
	v_cvt_f32_u32_e32 v6, s29
	s_sub_u32 s0, 0, s28
	s_subb_u32 s30, 0, s29
	v_fmac_f32_e32 v3, 0x4f800000, v6
	v_rcp_f32_e32 v3, v3
	v_mul_f32_e32 v3, 0x5f7ffffc, v3
	v_mul_f32_e32 v6, 0x2f800000, v3
	v_trunc_f32_e32 v6, v6
	v_fmac_f32_e32 v3, 0xcf800000, v6
	v_cvt_u32_f32_e32 v6, v6
	v_cvt_u32_f32_e32 v3, v3
	v_mul_lo_u32 v7, s0, v6
	v_mul_hi_u32 v9, s0, v3
	v_mul_lo_u32 v12, s30, v3
	v_add_nc_u32_e32 v7, v9, v7
	v_mul_lo_u32 v9, s0, v3
	v_add_nc_u32_e32 v7, v7, v12
	v_mul_hi_u32 v12, v3, v9
	v_mul_lo_u32 v13, v3, v7
	v_mul_hi_u32 v14, v3, v7
	v_mul_hi_u32 v15, v6, v9
	v_mul_lo_u32 v9, v6, v9
	v_mul_hi_u32 v16, v6, v7
	v_mul_lo_u32 v7, v6, v7
	v_add_co_u32 v12, vcc_lo, v12, v13
	v_add_co_ci_u32_e32 v13, vcc_lo, 0, v14, vcc_lo
	v_add_co_u32 v9, vcc_lo, v12, v9
	v_add_co_ci_u32_e32 v9, vcc_lo, v13, v15, vcc_lo
	v_add_co_ci_u32_e32 v12, vcc_lo, 0, v16, vcc_lo
	v_add_co_u32 v7, vcc_lo, v9, v7
	v_add_co_ci_u32_e32 v9, vcc_lo, 0, v12, vcc_lo
	v_add_co_u32 v3, vcc_lo, v3, v7
	v_add_co_ci_u32_e32 v6, vcc_lo, v6, v9, vcc_lo
	v_mul_hi_u32 v7, s0, v3
	v_mul_lo_u32 v12, s30, v3
	v_mul_lo_u32 v9, s0, v6
	v_add_nc_u32_e32 v7, v7, v9
	v_mul_lo_u32 v9, s0, v3
	v_add_nc_u32_e32 v7, v7, v12
	v_mul_hi_u32 v12, v3, v9
	v_mul_lo_u32 v13, v3, v7
	v_mul_hi_u32 v14, v3, v7
	v_mul_hi_u32 v15, v6, v9
	v_mul_lo_u32 v9, v6, v9
	v_mul_hi_u32 v16, v6, v7
	v_mul_lo_u32 v7, v6, v7
	v_add_co_u32 v12, vcc_lo, v12, v13
	v_add_co_ci_u32_e32 v13, vcc_lo, 0, v14, vcc_lo
	v_add_co_u32 v9, vcc_lo, v12, v9
	v_add_co_ci_u32_e32 v9, vcc_lo, v13, v15, vcc_lo
	v_add_co_ci_u32_e32 v12, vcc_lo, 0, v16, vcc_lo
	v_add_co_u32 v7, vcc_lo, v9, v7
	v_add_co_ci_u32_e32 v9, vcc_lo, 0, v12, vcc_lo
	v_add_co_u32 v3, vcc_lo, v3, v7
	v_add_co_ci_u32_e32 v9, vcc_lo, v6, v9, vcc_lo
	v_mul_hi_u32 v16, v10, v3
	v_mad_u64_u32 v[12:13], null, v11, v3, 0
	v_mad_u64_u32 v[6:7], null, v10, v9, 0
	v_mad_u64_u32 v[14:15], null, v11, v9, 0
	v_add_co_u32 v3, vcc_lo, v16, v6
	v_add_co_ci_u32_e32 v6, vcc_lo, 0, v7, vcc_lo
	v_add_co_u32 v3, vcc_lo, v3, v12
	v_add_co_ci_u32_e32 v3, vcc_lo, v6, v13, vcc_lo
	v_add_co_ci_u32_e32 v6, vcc_lo, 0, v15, vcc_lo
	v_add_co_u32 v3, vcc_lo, v3, v14
	v_add_co_ci_u32_e32 v9, vcc_lo, 0, v6, vcc_lo
	v_mul_lo_u32 v12, s29, v3
	v_mad_u64_u32 v[6:7], null, s28, v3, 0
	v_mul_lo_u32 v13, s28, v9
	v_sub_co_u32 v6, vcc_lo, v10, v6
	v_add3_u32 v7, v7, v13, v12
	v_sub_nc_u32_e32 v12, v11, v7
	v_subrev_co_ci_u32_e64 v12, s0, s29, v12, vcc_lo
	v_add_co_u32 v13, s0, v3, 2
	v_add_co_ci_u32_e64 v14, s0, 0, v9, s0
	v_sub_co_u32 v15, s0, v6, s28
	v_sub_co_ci_u32_e32 v7, vcc_lo, v11, v7, vcc_lo
	v_subrev_co_ci_u32_e64 v12, s0, 0, v12, s0
	v_cmp_le_u32_e32 vcc_lo, s28, v15
	v_cmp_eq_u32_e64 s0, s29, v7
	v_cndmask_b32_e64 v15, 0, -1, vcc_lo
	v_cmp_le_u32_e32 vcc_lo, s29, v12
	v_cndmask_b32_e64 v16, 0, -1, vcc_lo
	v_cmp_le_u32_e32 vcc_lo, s28, v6
	;; [unrolled: 2-line block ×3, first 2 shown]
	v_cndmask_b32_e64 v17, 0, -1, vcc_lo
	v_cmp_eq_u32_e32 vcc_lo, s29, v12
	v_cndmask_b32_e64 v6, v17, v6, s0
	v_cndmask_b32_e32 v12, v16, v15, vcc_lo
	v_add_co_u32 v15, vcc_lo, v3, 1
	v_add_co_ci_u32_e32 v16, vcc_lo, 0, v9, vcc_lo
	v_cmp_ne_u32_e32 vcc_lo, 0, v12
	v_cndmask_b32_e32 v7, v16, v14, vcc_lo
	v_cndmask_b32_e32 v12, v15, v13, vcc_lo
	v_cmp_ne_u32_e32 vcc_lo, 0, v6
	v_cndmask_b32_e32 v7, v9, v7, vcc_lo
	v_cndmask_b32_e32 v6, v3, v12, vcc_lo
.LBB0_4:                                ;   in Loop: Header=BB0_2 Depth=1
	s_andn2_saveexec_b32 s0, s1
	s_cbranch_execz .LBB0_6
; %bb.5:                                ;   in Loop: Header=BB0_2 Depth=1
	v_cvt_f32_u32_e32 v3, s28
	s_sub_i32 s1, 0, s28
	v_rcp_iflag_f32_e32 v3, v3
	v_mul_f32_e32 v3, 0x4f7ffffe, v3
	v_cvt_u32_f32_e32 v3, v3
	v_mul_lo_u32 v6, s1, v3
	v_mul_hi_u32 v6, v3, v6
	v_add_nc_u32_e32 v3, v3, v6
	v_mul_hi_u32 v3, v10, v3
	v_mul_lo_u32 v6, v3, s28
	v_add_nc_u32_e32 v7, 1, v3
	v_sub_nc_u32_e32 v6, v10, v6
	v_subrev_nc_u32_e32 v9, s28, v6
	v_cmp_le_u32_e32 vcc_lo, s28, v6
	v_cndmask_b32_e32 v6, v6, v9, vcc_lo
	v_cndmask_b32_e32 v3, v3, v7, vcc_lo
	v_cmp_le_u32_e32 vcc_lo, s28, v6
	v_add_nc_u32_e32 v7, 1, v3
	v_cndmask_b32_e32 v6, v3, v7, vcc_lo
	v_mov_b32_e32 v7, v8
.LBB0_6:                                ;   in Loop: Header=BB0_2 Depth=1
	s_or_b32 exec_lo, exec_lo, s0
	v_mul_lo_u32 v3, v7, s28
	v_mul_lo_u32 v9, v6, s29
	s_load_dwordx2 s[0:1], s[22:23], 0x0
	v_mad_u64_u32 v[12:13], null, v6, s28, 0
	s_load_dwordx2 s[28:29], s[6:7], 0x0
	s_add_u32 s26, s26, 1
	s_addc_u32 s27, s27, 0
	s_add_u32 s6, s6, 8
	s_addc_u32 s7, s7, 0
	s_add_u32 s22, s22, 8
	v_add3_u32 v3, v13, v9, v3
	v_sub_co_u32 v9, vcc_lo, v10, v12
	s_addc_u32 s23, s23, 0
	s_add_u32 s24, s24, 8
	v_sub_co_ci_u32_e32 v3, vcc_lo, v11, v3, vcc_lo
	s_addc_u32 s25, s25, 0
	s_waitcnt lgkmcnt(0)
	v_mul_lo_u32 v10, s0, v3
	v_mul_lo_u32 v11, s1, v9
	v_mad_u64_u32 v[1:2], null, s0, v9, v[1:2]
	v_mul_lo_u32 v3, s28, v3
	v_mul_lo_u32 v12, s29, v9
	v_mad_u64_u32 v[4:5], null, s28, v9, v[4:5]
	v_cmp_ge_u64_e64 s0, s[26:27], s[14:15]
	v_add3_u32 v2, v11, v2, v10
	v_add3_u32 v5, v12, v5, v3
	s_and_b32 vcc_lo, exec_lo, s0
	s_cbranch_vccnz .LBB0_9
; %bb.7:                                ;   in Loop: Header=BB0_2 Depth=1
	v_mov_b32_e32 v11, v7
	v_mov_b32_e32 v10, v6
	s_branch .LBB0_2
.LBB0_8:
	v_mov_b32_e32 v5, v2
	v_mov_b32_e32 v6, v10
	;; [unrolled: 1-line block ×4, first 2 shown]
.LBB0_9:
	s_load_dwordx2 s[0:1], s[4:5], 0x28
	v_mul_hi_u32 v3, 0x28f5c29, v0
	s_lshl_b64 s[6:7], s[14:15], 3
                                        ; implicit-def: $vgpr25
                                        ; implicit-def: $vgpr33
                                        ; implicit-def: $vgpr29
                                        ; implicit-def: $vgpr30
                                        ; implicit-def: $vgpr31
                                        ; implicit-def: $vgpr27
                                        ; implicit-def: $vgpr32
                                        ; implicit-def: $vgpr21
                                        ; implicit-def: $vgpr23
                                        ; implicit-def: $vgpr24
                                        ; implicit-def: $vgpr22
                                        ; implicit-def: $vgpr26
                                        ; implicit-def: $vgpr28
	s_add_u32 s4, s18, s6
	s_addc_u32 s5, s19, s7
	v_mul_u32_u24_e32 v3, 0x64, v3
	v_sub_nc_u32_e32 v17, v0, v3
                                        ; implicit-def: $vgpr0
                                        ; implicit-def: $vgpr3
	v_cmp_gt_u32_e32 vcc_lo, 50, v17
	s_waitcnt lgkmcnt(0)
	v_cmp_gt_u64_e64 s0, s[0:1], v[6:7]
	v_add_nc_u32_e32 v16, 50, v17
	v_add_nc_u32_e32 v15, 0x64, v17
	v_add_nc_u32_e32 v14, 0x96, v17
	v_add_nc_u32_e32 v13, 0xc8, v17
	v_add_nc_u32_e32 v12, 0xfa, v17
	v_add_nc_u32_e32 v11, 0x12c, v17
	v_add_nc_u32_e32 v10, 0x15e, v17
	v_add_nc_u32_e32 v9, 0x190, v17
	v_add_nc_u32_e32 v8, 0x1c2, v17
	s_and_b32 s14, s0, vcc_lo
	s_and_saveexec_b32 s1, s14
	s_cbranch_execz .LBB0_11
; %bb.10:
	s_add_u32 s6, s16, s6
	s_addc_u32 s7, s17, s7
	v_mad_u64_u32 v[18:19], null, s20, v17, 0
	s_load_dwordx2 s[6:7], s[6:7], 0x0
	v_mad_u64_u32 v[20:21], null, s20, v15, 0
	v_lshlrev_b64 v[0:1], 2, v[1:2]
	v_mad_u64_u32 v[2:3], null, s20, v16, 0
	v_mad_u64_u32 v[22:23], null, s20, v14, 0
	;; [unrolled: 1-line block ×5, first 2 shown]
	v_mov_b32_e32 v19, v28
	s_waitcnt lgkmcnt(0)
	v_mul_lo_u32 v31, s7, v6
	v_mul_lo_u32 v32, s6, v7
	v_mad_u64_u32 v[26:27], null, s6, v6, 0
	v_lshlrev_b64 v[18:19], 2, v[18:19]
	v_mov_b32_e32 v3, v29
	v_mad_u64_u32 v[28:29], null, s20, v12, 0
	v_add3_u32 v27, v27, v32, v31
	v_mad_u64_u32 v[30:31], null, s21, v15, v[21:22]
	v_mad_u64_u32 v[31:32], null, s21, v14, v[23:24]
	v_lshlrev_b64 v[26:27], 2, v[26:27]
	v_lshlrev_b64 v[2:3], 2, v[2:3]
	v_mov_b32_e32 v21, v30
	v_add_co_u32 v23, s0, s8, v26
	v_mad_u64_u32 v[32:33], null, s21, v13, v[25:26]
	v_add_co_ci_u32_e64 v25, s0, s9, v27, s0
	v_add_co_u32 v37, s0, v23, v0
	v_mov_b32_e32 v23, v31
	v_add_co_ci_u32_e64 v38, s0, v25, v1, s0
	v_lshlrev_b64 v[0:1], 2, v[20:21]
	v_add_co_u32 v18, s0, v37, v18
	v_add_co_ci_u32_e64 v19, s0, v38, v19, s0
	v_mov_b32_e32 v25, v32
	v_add_co_u32 v20, s0, v37, v0
	v_add_co_ci_u32_e64 v21, s0, v38, v1, s0
	global_load_dword v0, v[18:19], off
	v_add_co_u32 v1, s0, v37, v2
	global_load_dword v21, v[20:21], off
	v_lshlrev_b64 v[18:19], 2, v[22:23]
	v_mad_u64_u32 v[22:23], null, s20, v11, 0
	v_add_co_ci_u32_e64 v2, s0, v38, v3, s0
	v_mad_u64_u32 v[30:31], null, s20, v9, 0
	v_lshlrev_b64 v[24:25], 2, v[24:25]
	v_mad_u64_u32 v[32:33], null, s20, v10, 0
	v_mov_b32_e32 v3, v23
	v_mov_b32_e32 v20, v29
	v_add_co_u32 v18, s0, v37, v18
	v_add_co_ci_u32_e64 v19, s0, v38, v19, s0
	v_mad_u64_u32 v[26:27], null, s21, v11, v[3:4]
	v_add_co_u32 v24, s0, v37, v24
	v_mov_b32_e32 v3, v31
	v_add_co_ci_u32_e64 v25, s0, v38, v25, s0
	v_mov_b32_e32 v23, v26
	v_mad_u64_u32 v[26:27], null, s21, v9, v[3:4]
	global_load_dword v27, v[24:25], off
	v_lshlrev_b64 v[22:23], 2, v[22:23]
	v_mov_b32_e32 v31, v26
	v_add_co_u32 v22, s0, v37, v22
	v_add_co_ci_u32_e64 v23, s0, v38, v23, s0
	s_waitcnt vmcnt(1)
	v_mad_u64_u32 v[34:35], null, s21, v12, v[20:21]
	v_mov_b32_e32 v20, v33
	v_mad_u64_u32 v[35:36], null, s20, v8, 0
	v_mad_u64_u32 v[24:25], null, s21, v10, v[20:21]
	v_mov_b32_e32 v29, v34
	v_mov_b32_e32 v3, v36
	v_lshlrev_b64 v[28:29], 2, v[28:29]
	v_mov_b32_e32 v33, v24
	v_mad_u64_u32 v[24:25], null, s21, v8, v[3:4]
	v_lshlrev_b64 v[25:26], 2, v[30:31]
	global_load_dword v30, v[22:23], off
	v_add_co_u32 v28, s0, v37, v28
	v_lshlrev_b64 v[22:23], 2, v[32:33]
	v_add_co_ci_u32_e64 v29, s0, v38, v29, s0
	v_mov_b32_e32 v36, v24
	v_add_co_u32 v24, s0, v37, v25
	v_add_co_ci_u32_e64 v25, s0, v38, v26, s0
	v_lshlrev_b64 v[31:32], 2, v[35:36]
	v_add_co_u32 v22, s0, v37, v22
	v_add_co_ci_u32_e64 v23, s0, v38, v23, s0
	global_load_dword v33, v[24:25], off
	v_add_co_u32 v31, s0, v37, v31
	v_add_co_ci_u32_e64 v32, s0, v38, v32, s0
	s_clause 0x4
	global_load_dword v24, v[22:23], off
	global_load_dword v26, v[28:29], off
	;; [unrolled: 1-line block ×5, first 2 shown]
	v_lshrrev_b32_e32 v23, 16, v0
	v_lshrrev_b32_e32 v32, 16, v21
	s_waitcnt vmcnt(7)
	v_lshrrev_b32_e32 v31, 16, v27
	s_waitcnt vmcnt(6)
	;; [unrolled: 2-line block ×3, first 2 shown]
	v_lshrrev_b32_e32 v25, 16, v33
.LBB0_11:
	s_or_b32 exec_lo, exec_lo, s1
	v_add_f16_e32 v1, v30, v27
	v_add_f16_e32 v2, v21, v0
	v_sub_f16_e32 v18, v32, v25
	v_sub_f16_e32 v19, v31, v29
	;; [unrolled: 1-line block ×3, first 2 shown]
	v_fma_f16 v1, -0.5, v1, v0
	v_sub_f16_e32 v34, v33, v30
	v_add_f16_e32 v36, v27, v2
	v_add_f16_e32 v35, v33, v21
	s_waitcnt vmcnt(0)
	v_pk_add_f16 v38, v28, v22 neg_lo:[0,1] neg_hi:[0,1]
	v_fmamk_f16 v2, v18, 0x3b9c, v1
	v_fmac_f16_e32 v1, 0xbb9c, v18
	v_add_f16_e32 v20, v34, v20
	v_fmac_f16_e32 v0, -0.5, v35
	v_pk_add_f16 v35, v28, v26 neg_lo:[0,1] neg_hi:[0,1]
	v_fmac_f16_e32 v2, 0x38b4, v19
	v_fmac_f16_e32 v1, 0xb8b4, v19
	v_add_f16_e32 v34, v30, v36
	v_fmamk_f16 v43, v19, 0xbb9c, v0
	v_add_f16_e32 v36, v24, v26
	v_fmac_f16_e32 v2, 0x34f2, v20
	v_fmac_f16_e32 v1, 0x34f2, v20
	v_pk_add_f16 v20, v22, v24 neg_lo:[0,1] neg_hi:[0,1]
	v_pk_add_f16 v42, v26, v24 neg_lo:[0,1] neg_hi:[0,1]
	v_fmac_f16_e32 v0, 0x3b9c, v19
	v_add_f16_e32 v19, v28, v3
	v_add_f16_e32 v41, v33, v34
	v_pk_add_f16 v20, v20, v35
	v_sub_f16_e32 v34, v27, v21
	v_sub_f16_e32 v35, v30, v33
	v_fmac_f16_e32 v43, 0x38b4, v18
	v_fma_f16 v36, -0.5, v36, v3
	v_lshrrev_b32_e32 v37, 16, v38
	v_bfi_b32 v20, 0xffff, v20, v42
	v_fmac_f16_e32 v0, 0xb8b4, v18
	v_add_f16_e32 v18, v26, v19
	v_pk_add_f16 v19, v22, v28
	v_add_f16_e32 v34, v35, v34
	v_fmamk_f16 v35, v37, 0x3b9c, v36
	v_pk_mul_f16 v20, 0x38b434f2, v20
	v_fmac_f16_e32 v36, 0xbb9c, v37
	v_lshrrev_b32_e32 v37, 16, v3
	v_pk_fma_f16 v3, v19, -0.5, v3 op_sel_hi:[1,0,1]
	v_pk_mul_f16 v19, 0x3b9c, v42 op_sel_hi:[0,1]
	v_mul_f16_e32 v44, 0x34f2, v34
	v_add_f16_sdwa v34, v20, v35 dst_sel:DWORD dst_unused:UNUSED_PAD src0_sel:WORD_1 src1_sel:DWORD
	v_add_f16_sdwa v35, v24, v26 dst_sel:DWORD dst_unused:UNUSED_PAD src0_sel:WORD_1 src1_sel:WORD_1
	v_pk_mul_f16 v45, 0x38b4, v38 op_sel_hi:[0,1]
	v_pk_add_f16 v40, v19, v3 op_sel:[1,0] op_sel_hi:[0,1]
	v_pk_add_f16 v46, v26, v28 neg_lo:[0,1] neg_hi:[0,1]
	v_pk_add_f16 v47, v24, v22 neg_lo:[0,1] neg_hi:[0,1]
	v_fma_f16 v35, -0.5, v35, v37
	v_pk_add_f16 v3, v3, v19 op_sel:[0,1] op_sel_hi:[1,0] neg_lo:[0,1] neg_hi:[0,1]
	v_pk_add_f16 v40, v40, v45 op_sel:[0,1] op_sel_hi:[1,0] neg_lo:[0,1] neg_hi:[0,1]
	v_add_f16_e32 v39, v20, v34
	v_pk_add_f16 v19, v47, v46
	v_sub_f16_sdwa v36, v36, v20 dst_sel:DWORD dst_unused:UNUSED_PAD src0_sel:DWORD src1_sel:WORD_1
	v_fmamk_f16 v34, v38, 0xbb9c, v35
	v_sub_f16_sdwa v48, v28, v26 dst_sel:DWORD dst_unused:UNUSED_PAD src0_sel:WORD_1 src1_sel:WORD_1
	v_sub_f16_sdwa v46, v22, v24 dst_sel:DWORD dst_unused:UNUSED_PAD src0_sel:WORD_1 src1_sel:WORD_1
	v_fmac_f16_e32 v35, 0x3b9c, v38
	v_pk_add_f16 v3, v45, v3 op_sel:[1,0] op_sel_hi:[0,1]
	v_pk_fma_f16 v40, 0x34f2, v19, v40 op_sel_hi:[0,1,1]
	v_fmac_f16_e32 v34, 0xb8b4, v42
	v_add_f16_e32 v45, v46, v48
	v_fmac_f16_e32 v35, 0x38b4, v42
	v_add_f16_e32 v36, v20, v36
	v_pk_fma_f16 v38, 0x34f2, v19, v3 op_sel_hi:[0,1,1]
	v_pk_mul_f16 v3, 0x3b9c34f2, v40
	v_add_f16_e32 v18, v24, v18
	v_fmac_f16_e32 v34, 0x34f2, v45
	v_fmac_f16_e32 v35, 0x34f2, v45
	v_mul_f16_e32 v42, 0x3a79, v39
	v_pack_b32_f16 v19, v43, v0
	v_pk_fma_f16 v20, 0x3b9c34f2, v38, v3 op_sel:[0,0,1] op_sel_hi:[1,1,0] neg_lo:[0,0,1] neg_hi:[0,0,1]
	v_pk_fma_f16 v3, 0x3b9c34f2, v38, v3 op_sel:[0,0,1] op_sel_hi:[1,1,0]
	v_mul_f16_e32 v45, 0x3a79, v36
	v_add_f16_e32 v0, v22, v18
	v_fmac_f16_e32 v42, 0x38b4, v34
	v_pk_add_f16 v43, v44, v19 op_sel_hi:[0,1]
	v_bfi_b32 v44, 0xffff, v3, v20
	v_fma_f16 v45, v35, 0x38b4, -v45
	v_sub_f16_e32 v19, v41, v0
	v_sub_f16_e32 v18, v2, v42
	v_pk_add_f16 v3, v43, v44 neg_lo:[0,1] neg_hi:[0,1]
	v_sub_f16_e32 v20, v1, v45
	s_and_saveexec_b32 s0, vcc_lo
	s_cbranch_execz .LBB0_13
; %bb.12:
	v_mul_u32_u24_e32 v46, 10, v17
	v_perm_b32 v2, v43, v2, 0x5040100
	v_perm_b32 v42, v44, v42, 0x5040100
	v_alignbit_b32 v1, v1, v43, 16
	v_alignbit_b32 v43, v45, v44, 16
	v_add_f16_e32 v41, v0, v41
	v_lshl_add_u32 v44, v46, 1, 0
	v_pk_add_f16 v0, v2, v42
	v_perm_b32 v2, v18, v19, 0x5040100
	v_pk_add_f16 v1, v1, v43
	ds_write_b16 v44, v41
	ds_write_b128 v44, v[0:3] offset:2
	ds_write_b16 v44, v20 offset:18
.LBB0_13:
	s_or_b32 exec_lo, exec_lo, s0
	v_add_f16_e32 v0, v29, v31
	v_add_f16_e32 v1, v32, v23
	;; [unrolled: 1-line block ×3, first 2 shown]
	v_sub_f16_e32 v2, v21, v33
	v_sub_f16_e32 v21, v27, v30
	;; [unrolled: 1-line block ×3, first 2 shown]
	v_fma_f16 v27, -0.5, v0, v23
	v_sub_f16_e32 v0, v25, v29
	v_add_f16_e32 v1, v31, v1
	v_fmac_f16_e32 v23, -0.5, v41
	v_sub_f16_e32 v32, v31, v32
	v_sub_f16_e32 v31, v29, v25
	v_add_f16_e32 v41, v0, v33
	v_add_f16_e32 v0, v29, v1
	v_add_f16_sdwa v1, v28, v37 dst_sel:DWORD dst_unused:UNUSED_PAD src0_sel:WORD_1 src1_sel:DWORD
	v_fmamk_f16 v28, v21, 0x3b9c, v23
	v_fmac_f16_e32 v23, 0xbb9c, v21
	v_fmamk_f16 v30, v2, 0xbb9c, v27
	v_add_f16_e32 v29, v25, v0
	v_fmac_f16_e32 v27, 0x3b9c, v2
	v_add_f16_e32 v0, v31, v32
	v_add_f16_sdwa v1, v26, v1 dst_sel:DWORD dst_unused:UNUSED_PAD src0_sel:WORD_1 src1_sel:DWORD
	v_fmac_f16_e32 v28, 0xb8b4, v2
	v_fmac_f16_e32 v23, 0x38b4, v2
	v_lshl_add_u32 v33, v17, 1, 0
	v_fmac_f16_e32 v30, 0xb8b4, v21
	v_fmac_f16_e32 v27, 0x38b4, v21
	v_mul_f16_e32 v2, 0x34f2, v0
	v_add_f16_sdwa v1, v24, v1 dst_sel:DWORD dst_unused:UNUSED_PAD src0_sel:WORD_1 src1_sel:DWORD
	v_pack_b32_f16 v21, v28, v23
	s_waitcnt lgkmcnt(0)
	s_barrier
	buffer_gl0_inv
	ds_read_u16 v0, v33
	ds_read_u16 v28, v33 offset:200
	ds_read_u16 v26, v33 offset:400
	;; [unrolled: 1-line block ×4, first 2 shown]
	v_mul_f16_e32 v31, 0xb8b4, v39
	v_pk_mul_f16 v32, 0x34f2bb9c, v40
	v_mul_f16_e32 v35, 0x3a79, v35
	v_fmac_f16_e32 v30, 0x34f2, v41
	v_pk_add_f16 v23, v2, v21 op_sel_hi:[0,1]
	v_fmac_f16_e32 v31, 0x3a79, v34
	v_pk_fma_f16 v32, 0xb4f2bb9c, v38, v32 op_sel:[0,0,1] op_sel_hi:[1,1,0]
	v_fmac_f16_e32 v27, 0x34f2, v41
	v_fma_f16 v34, v36, 0xb8b4, -v35
	v_add_f16_sdwa v22, v22, v1 dst_sel:DWORD dst_unused:UNUSED_PAD src0_sel:WORD_1 src1_sel:DWORD
	v_pack_b32_f16 v2, v30, v23
	v_pack_b32_f16 v21, v31, v32
	v_alignbit_b32 v35, v27, v23, 16
	v_alignbit_b32 v36, v34, v32, 16
	v_sub_f16_e32 v1, v29, v22
	s_waitcnt lgkmcnt(0)
	v_pk_add_f16 v21, v2, v21 neg_lo:[0,1] neg_hi:[0,1]
	s_barrier
	v_pk_add_f16 v2, v35, v36 neg_lo:[0,1] neg_hi:[0,1]
	buffer_gl0_inv
	s_and_saveexec_b32 s0, vcc_lo
	s_cbranch_execz .LBB0_15
; %bb.14:
	v_add_f16_e32 v22, v22, v29
	v_add_f16_e32 v29, v30, v31
	;; [unrolled: 1-line block ×3, first 2 shown]
	v_pk_add_f16 v23, v23, v32
	v_mad_u32_u24 v30, v17, 18, v33
	v_pack_b32_f16 v22, v22, v29
	v_perm_b32 v27, v1, v27, 0x5040100
	ds_write2_b32 v30, v22, v23 offset1:1
	ds_write2_b32 v30, v27, v21 offset0:2 offset1:3
	ds_write_b32 v30, v2 offset:16
.LBB0_15:
	s_or_b32 exec_lo, exec_lo, s0
	v_and_b32_e32 v22, 0xff, v17
	v_mov_b32_e32 v27, 4
	s_load_dwordx2 s[0:1], s[4:5], 0x0
	s_waitcnt lgkmcnt(0)
	s_barrier
	v_mul_lo_u16 v22, 0xcd, v22
	buffer_gl0_inv
	v_mov_b32_e32 v30, 1
	v_lshrrev_b16 v22, 11, v22
	v_mul_lo_u16 v23, v22, 10
	v_sub_nc_u16 v23, v17, v23
	v_lshlrev_b32_sdwa v27, v27, v23 dst_sel:DWORD dst_unused:UNUSED_PAD src0_sel:DWORD src1_sel:BYTE_0
	global_load_dwordx4 v[35:38], v27, s[12:13]
	ds_read_u16 v29, v33 offset:200
	ds_read_u16 v39, v33 offset:400
	;; [unrolled: 1-line block ×4, first 2 shown]
	v_mov_b32_e32 v27, 0x64
	v_mul_u32_u24_sdwa v22, v22, v27 dst_sel:DWORD dst_unused:UNUSED_PAD src0_sel:WORD_0 src1_sel:DWORD
	v_lshlrev_b32_sdwa v27, v30, v23 dst_sel:DWORD dst_unused:UNUSED_PAD src0_sel:DWORD src1_sel:BYTE_0
	ds_read_u16 v23, v33
	s_waitcnt vmcnt(0) lgkmcnt(0)
	s_barrier
	buffer_gl0_inv
	v_add3_u32 v34, 0, v22, v27
	v_mul_f16_sdwa v22, v29, v35 dst_sel:DWORD dst_unused:UNUSED_PAD src0_sel:DWORD src1_sel:WORD_1
	v_mul_f16_sdwa v30, v28, v35 dst_sel:DWORD dst_unused:UNUSED_PAD src0_sel:DWORD src1_sel:WORD_1
	;; [unrolled: 1-line block ×8, first 2 shown]
	v_fma_f16 v28, v28, v35, -v22
	v_fmac_f16_e32 v30, v29, v35
	v_fma_f16 v29, v26, v36, -v42
	v_fmac_f16_e32 v32, v39, v36
	v_fma_f16 v35, v25, v37, -v43
	v_fma_f16 v36, v24, v38, -v44
	v_fmac_f16_e32 v27, v41, v38
	v_fmac_f16_e32 v31, v40, v37
	v_add_f16_e32 v22, v0, v28
	v_add_f16_e32 v24, v29, v35
	;; [unrolled: 1-line block ×3, first 2 shown]
	v_sub_f16_e32 v37, v30, v27
	v_sub_f16_e32 v38, v32, v31
	;; [unrolled: 1-line block ×4, first 2 shown]
	v_fma_f16 v24, -0.5, v24, v0
	v_fmac_f16_e32 v0, -0.5, v26
	v_sub_f16_e32 v40, v29, v28
	v_sub_f16_e32 v41, v35, v36
	v_add_f16_e32 v22, v22, v29
	v_add_f16_e32 v39, v25, v39
	v_fmamk_f16 v26, v37, 0x3b9c, v24
	v_fmamk_f16 v25, v38, 0xbb9c, v0
	v_fmac_f16_e32 v0, 0x3b9c, v38
	v_fmac_f16_e32 v24, 0xbb9c, v37
	v_add_f16_e32 v40, v40, v41
	v_add_f16_e32 v22, v22, v35
	v_fmac_f16_e32 v26, 0x38b4, v38
	v_fmac_f16_e32 v25, 0x38b4, v37
	;; [unrolled: 1-line block ×4, first 2 shown]
	v_add_f16_e32 v22, v22, v36
	v_fmac_f16_e32 v26, 0x34f2, v39
	v_fmac_f16_e32 v25, 0x34f2, v40
	;; [unrolled: 1-line block ×4, first 2 shown]
	ds_write_b16 v34, v22
	ds_write_b16 v34, v26 offset:20
	ds_write_b16 v34, v25 offset:40
	;; [unrolled: 1-line block ×4, first 2 shown]
	s_waitcnt lgkmcnt(0)
	s_barrier
	buffer_gl0_inv
	s_and_saveexec_b32 s4, vcc_lo
	s_cbranch_execz .LBB0_17
; %bb.16:
	ds_read_u16 v3, v33 offset:700
	ds_read_u16 v22, v33
	ds_read_u16 v26, v33 offset:100
	ds_read_u16 v25, v33 offset:200
	;; [unrolled: 1-line block ×6, first 2 shown]
	s_waitcnt lgkmcnt(7)
	ds_read_u16_d16_hi v3, v33 offset:800
	ds_read_u16 v20, v33 offset:900
.LBB0_17:
	s_or_b32 exec_lo, exec_lo, s4
	v_add_f16_e32 v37, v32, v31
	v_add_f16_e32 v38, v23, v30
	v_sub_f16_e32 v36, v28, v36
	v_add_f16_e32 v28, v30, v27
	v_sub_f16_e32 v35, v29, v35
	v_fma_f16 v29, -0.5, v37, v23
	v_add_f16_e32 v38, v38, v32
	v_sub_f16_e32 v37, v30, v32
	v_fmac_f16_e32 v23, -0.5, v28
	v_sub_f16_e32 v39, v27, v31
	v_fmamk_f16 v28, v36, 0xbb9c, v29
	v_sub_f16_e32 v32, v32, v30
	v_add_f16_e32 v38, v38, v31
	v_fmac_f16_e32 v29, 0x3b9c, v36
	v_fmamk_f16 v30, v35, 0x3b9c, v23
	v_sub_f16_e32 v31, v31, v27
	v_fmac_f16_e32 v23, 0xbb9c, v35
	v_fmac_f16_e32 v28, 0xb8b4, v35
	v_add_f16_e32 v37, v37, v39
	v_fmac_f16_e32 v29, 0x38b4, v35
	v_fmac_f16_e32 v30, 0xb8b4, v36
	v_add_f16_e32 v31, v32, v31
	v_fmac_f16_e32 v23, 0x38b4, v36
	v_add_f16_e32 v27, v38, v27
	v_fmac_f16_e32 v28, 0x34f2, v37
	v_fmac_f16_e32 v29, 0x34f2, v37
	;; [unrolled: 1-line block ×4, first 2 shown]
	v_lshrrev_b32_e32 v31, 16, v21
	v_lshrrev_b32_e32 v32, 16, v2
	s_waitcnt lgkmcnt(0)
	s_barrier
	buffer_gl0_inv
	ds_write_b16 v34, v27
	ds_write_b16 v34, v28 offset:20
	ds_write_b16 v34, v30 offset:40
	ds_write_b16 v34, v23 offset:60
	ds_write_b16 v34, v29 offset:80
	s_waitcnt lgkmcnt(0)
	s_barrier
	buffer_gl0_inv
	s_and_saveexec_b32 s4, vcc_lo
	s_cbranch_execnz .LBB0_20
; %bb.18:
	s_or_b32 exec_lo, exec_lo, s4
	s_and_saveexec_b32 s4, s14
	s_cbranch_execnz .LBB0_21
.LBB0_19:
	s_endpgm
.LBB0_20:
	ds_read_u16 v27, v33
	ds_read_u16 v28, v33 offset:100
	ds_read_u16 v30, v33 offset:200
	;; [unrolled: 1-line block ×9, first 2 shown]
	s_or_b32 exec_lo, exec_lo, s4
	s_and_saveexec_b32 s4, s14
	s_cbranch_execz .LBB0_19
.LBB0_21:
	v_mad_u64_u32 v[33:34], null, s2, v17, 0
	v_mad_u64_u32 v[35:36], null, s2, v16, 0
	v_mul_u32_u24_e32 v44, 9, v17
	v_mul_lo_u32 v42, s1, v6
	v_mul_lo_u32 v43, s0, v7
	v_mad_u64_u32 v[6:7], null, s0, v6, 0
	v_mad_u64_u32 v[37:38], null, s2, v15, 0
	;; [unrolled: 1-line block ×3, first 2 shown]
	v_mov_b32_e32 v17, v36
	v_mad_u64_u32 v[40:41], null, s2, v14, 0
	v_add3_u32 v7, v7, v43, v42
	v_mad_u64_u32 v[42:43], null, s2, v13, 0
	v_mad_u64_u32 v[16:17], null, s3, v16, v[17:18]
	v_mov_b32_e32 v17, v38
	v_lshlrev_b32_e32 v56, 2, v44
	v_mad_u64_u32 v[44:45], null, s2, v12, 0
	v_mov_b32_e32 v34, v39
	v_mad_u64_u32 v[38:39], null, s3, v15, v[17:18]
	v_mov_b32_e32 v36, v16
	v_mov_b32_e32 v16, v41
	v_mov_b32_e32 v15, v43
	v_mad_u64_u32 v[48:49], null, s2, v10, 0
	v_mad_u64_u32 v[50:51], null, s2, v9, 0
	;; [unrolled: 1-line block ×3, first 2 shown]
	v_mov_b32_e32 v14, v45
	v_lshlrev_b64 v[6:7], 2, v[6:7]
	v_lshlrev_b64 v[4:5], 2, v[4:5]
	v_mad_u64_u32 v[45:46], null, s3, v13, v[15:16]
	v_mad_u64_u32 v[46:47], null, s2, v11, 0
	;; [unrolled: 1-line block ×3, first 2 shown]
	v_mov_b32_e32 v41, v16
	v_add_co_u32 v6, vcc_lo, s10, v6
	v_mov_b32_e32 v43, v45
	v_mov_b32_e32 v13, v47
	v_add_co_ci_u32_e32 v7, vcc_lo, s11, v7, vcc_lo
	v_mov_b32_e32 v45, v12
	v_mov_b32_e32 v12, v49
	v_mad_u64_u32 v[52:53], null, s3, v11, v[13:14]
	v_mov_b32_e32 v14, v51
	v_mad_u64_u32 v[53:54], null, s3, v10, v[12:13]
	global_load_dwordx4 v[10:13], v56, s[12:13] offset:160
	v_mad_u64_u32 v[54:55], null, s3, v9, v[14:15]
	s_clause 0x1
	global_load_dwordx4 v[14:17], v56, s[12:13] offset:176
	global_load_dword v57, v56, s[12:13] offset:192
	v_mad_u64_u32 v[55:56], null, s2, v8, 0
	v_mov_b32_e32 v49, v53
	v_add_co_u32 v53, vcc_lo, v6, v4
	v_mov_b32_e32 v51, v54
	v_add_co_ci_u32_e32 v54, vcc_lo, v7, v5, vcc_lo
	v_mov_b32_e32 v9, v56
	v_lshlrev_b64 v[4:5], 2, v[33:34]
	v_lshlrev_b64 v[6:7], 2, v[35:36]
	;; [unrolled: 1-line block ×4, first 2 shown]
	v_mov_b32_e32 v47, v52
	v_lshlrev_b64 v[41:42], 2, v[48:49]
	v_add_co_u32 v4, vcc_lo, v53, v4
	v_add_co_ci_u32_e32 v5, vcc_lo, v54, v5, vcc_lo
	v_add_co_u32 v6, vcc_lo, v53, v6
	v_add_co_ci_u32_e32 v7, vcc_lo, v54, v7, vcc_lo
	v_lshlrev_b64 v[39:40], 2, v[46:47]
	v_lshrrev_b32_e32 v52, 16, v3
	s_waitcnt vmcnt(2)
	v_mad_u64_u32 v[8:9], null, s3, v8, v[9:10]
	v_lshrrev_b32_e32 v47, 16, v11
	v_lshrrev_b32_e32 v48, 16, v13
	s_waitcnt lgkmcnt(7)
	v_mul_f16_e32 v49, v30, v11
	s_waitcnt lgkmcnt(6)
	v_mul_f16_sdwa v58, v23, v12 dst_sel:DWORD dst_unused:UNUSED_PAD src0_sel:DWORD src1_sel:WORD_1
	s_waitcnt vmcnt(1) lgkmcnt(4)
	v_mul_f16_sdwa v59, v1, v14 dst_sel:DWORD dst_unused:UNUSED_PAD src0_sel:DWORD src1_sel:WORD_1
	v_mul_f16_e32 v30, v30, v47
	v_mov_b32_e32 v56, v8
	v_lshlrev_b64 v[8:9], 2, v[37:38]
	v_lshlrev_b64 v[37:38], 2, v[44:45]
	;; [unrolled: 1-line block ×3, first 2 shown]
	s_waitcnt lgkmcnt(2)
	v_mul_f16_sdwa v50, v31, v16 dst_sel:DWORD dst_unused:UNUSED_PAD src0_sel:DWORD src1_sel:WORD_1
	v_lshlrev_b64 v[45:46], 2, v[55:56]
	v_mul_f16_e32 v51, v29, v13
	v_add_co_u32 v8, vcc_lo, v53, v8
	v_add_co_ci_u32_e32 v9, vcc_lo, v54, v9, vcc_lo
	v_add_co_u32 v33, vcc_lo, v53, v33
	v_add_co_ci_u32_e32 v34, vcc_lo, v54, v34, vcc_lo
	;; [unrolled: 2-line block ×8, first 2 shown]
	v_lshrrev_b32_e32 v54, 16, v17
	s_waitcnt lgkmcnt(1)
	v_mul_f16_e32 v55, v2, v17
	v_lshrrev_b32_e32 v53, 16, v15
	v_fma_f16 v50, v3, v16, -v50
	v_mul_f16_sdwa v3, v3, v16 dst_sel:DWORD dst_unused:UNUSED_PAD src0_sel:DWORD src1_sel:WORD_1
	v_fmac_f16_e32 v51, v24, v48
	v_mul_f16_e32 v29, v29, v48
	s_waitcnt vmcnt(0) lgkmcnt(0)
	v_mul_f16_sdwa v48, v32, v57 dst_sel:DWORD dst_unused:UNUSED_PAD src0_sel:DWORD src1_sel:WORD_1
	v_fmac_f16_e32 v49, v25, v47
	v_mul_f16_sdwa v47, v0, v12 dst_sel:DWORD dst_unused:UNUSED_PAD src0_sel:DWORD src1_sel:WORD_1
	v_fmac_f16_e32 v55, v52, v54
	v_mul_f16_e32 v2, v2, v54
	v_mul_f16_sdwa v54, v20, v57 dst_sel:DWORD dst_unused:UNUSED_PAD src0_sel:DWORD src1_sel:WORD_1
	v_fma_f16 v0, v0, v12, -v58
	v_mul_f16_sdwa v58, v19, v14 dst_sel:DWORD dst_unused:UNUSED_PAD src0_sel:DWORD src1_sel:WORD_1
	v_mul_f16_e32 v56, v21, v15
	v_mul_f16_e32 v21, v21, v53
	v_fma_f16 v19, v19, v14, -v59
	v_mul_f16_sdwa v59, v26, v10 dst_sel:DWORD dst_unused:UNUSED_PAD src0_sel:DWORD src1_sel:WORD_1
	v_fma_f16 v20, v20, v57, -v48
	v_fmac_f16_e32 v47, v23, v12
	v_fmac_f16_e32 v54, v32, v57
	v_fmac_f16_e32 v58, v1, v14
	v_fmac_f16_e32 v3, v31, v16
	v_fmac_f16_e32 v56, v18, v53
	v_mul_f16_sdwa v53, v28, v10 dst_sel:DWORD dst_unused:UNUSED_PAD src0_sel:DWORD src1_sel:WORD_1
	v_fmac_f16_e32 v59, v28, v10
	v_fma_f16 v12, v24, v13, -v29
	v_fma_f16 v13, v18, v15, -v21
	v_sub_f16_e32 v15, v0, v19
	v_sub_f16_e32 v16, v20, v50
	;; [unrolled: 1-line block ×4, first 2 shown]
	v_fma_f16 v26, v26, v10, -v53
	v_sub_f16_e32 v1, v49, v51
	v_sub_f16_e32 v10, v55, v56
	v_fma_f16 v11, v25, v11, -v30
	v_fma_f16 v2, v52, v17, -v2
	v_add_f16_e32 v17, v19, v50
	v_sub_f16_e32 v18, v47, v54
	v_add_f16_e32 v29, v58, v3
	v_sub_f16_e32 v30, v51, v49
	v_sub_f16_e32 v31, v56, v55
	v_add_f16_e32 v53, v0, v20
	v_sub_f16_e32 v57, v58, v47
	v_add_f16_e32 v15, v15, v16
	v_add_f16_e32 v16, v47, v54
	;; [unrolled: 1-line block ×5, first 2 shown]
	v_sub_f16_e32 v28, v0, v20
	v_sub_f16_e32 v48, v19, v0
	;; [unrolled: 1-line block ×3, first 2 shown]
	v_add_f16_e32 v1, v1, v10
	v_sub_f16_e32 v10, v3, v54
	v_add_f16_e32 v0, v0, v26
	v_add_f16_e32 v14, v51, v56
	;; [unrolled: 1-line block ×3, first 2 shown]
	v_sub_f16_e32 v31, v51, v56
	v_fma_f16 v17, -0.5, v17, v26
	v_fma_f16 v29, -0.5, v29, v59
	;; [unrolled: 1-line block ×3, first 2 shown]
	v_add_f16_e32 v24, v24, v51
	v_add_f16_e32 v47, v58, v47
	v_sub_f16_e32 v51, v11, v12
	v_sub_f16_e32 v53, v2, v13
	;; [unrolled: 1-line block ×4, first 2 shown]
	v_add_f16_e32 v32, v49, v55
	v_add_f16_e32 v48, v48, v52
	v_sub_f16_e32 v52, v11, v2
	v_add_f16_e32 v10, v57, v10
	v_fma_f16 v16, -0.5, v16, v59
	v_add_f16_e32 v57, v12, v13
	v_sub_f16_e32 v58, v12, v11
	v_add_f16_e32 v0, v19, v0
	v_add_f16_e32 v19, v11, v2
	;; [unrolled: 1-line block ×4, first 2 shown]
	v_fmamk_f16 v47, v18, 0xbb9c, v17
	v_add_f16_e32 v51, v51, v53
	v_fmamk_f16 v53, v28, 0x3b9c, v29
	v_fmac_f16_e32 v29, 0xbb9c, v28
	v_fmac_f16_e32 v17, 0x3b9c, v18
	v_fma_f16 v14, -0.5, v14, v27
	v_fma_f16 v27, -0.5, v32, v27
	v_sub_f16_e32 v32, v12, v13
	v_fma_f16 v57, -0.5, v57, v22
	v_fma_f16 v19, -0.5, v19, v22
	v_fmamk_f16 v22, v21, 0x3b9c, v26
	v_add_f16_e32 v11, v11, v12
	v_fmamk_f16 v12, v25, 0xbb9c, v16
	v_fmac_f16_e32 v16, 0x3b9c, v25
	v_fmac_f16_e32 v26, 0xbb9c, v21
	v_sub_f16_e32 v49, v49, v55
	v_fmac_f16_e32 v29, 0xb8b4, v25
	v_fmac_f16_e32 v17, 0x38b4, v21
	v_sub_f16_e32 v59, v13, v2
	v_add_f16_e32 v24, v24, v56
	v_fmac_f16_e32 v16, 0xb8b4, v28
	v_fmac_f16_e32 v26, 0x38b4, v18
	;; [unrolled: 1-line block ×5, first 2 shown]
	v_fmamk_f16 v56, v52, 0x3b9c, v14
	v_fmac_f16_e32 v14, 0xbb9c, v52
	v_fmac_f16_e32 v47, 0xb8b4, v21
	v_add_f16_e32 v0, v50, v0
	v_fmamk_f16 v21, v49, 0xbb9c, v57
	v_fmac_f16_e32 v57, 0x3b9c, v49
	v_add_f16_e32 v11, v11, v13
	v_fmac_f16_e32 v29, 0x34f2, v23
	v_fmac_f16_e32 v17, 0x34f2, v15
	v_add_f16_e32 v58, v58, v59
	v_fmamk_f16 v59, v32, 0xbb9c, v27
	v_fmac_f16_e32 v27, 0x3b9c, v32
	v_add_f16_e32 v18, v55, v24
	v_fmamk_f16 v24, v31, 0x3b9c, v19
	v_fmac_f16_e32 v19, 0xbb9c, v31
	v_fmac_f16_e32 v16, 0x34f2, v10
	;; [unrolled: 1-line block ×8, first 2 shown]
	v_add_f16_e32 v3, v54, v3
	v_fmac_f16_e32 v47, 0x34f2, v15
	v_add_f16_e32 v0, v20, v0
	v_fmac_f16_e32 v57, 0x38b4, v31
	v_add_f16_e32 v2, v2, v11
	v_mul_f16_e32 v15, 0xb8b4, v17
	v_mul_f16_e32 v25, 0x38b4, v29
	v_fmac_f16_e32 v27, 0xb8b4, v52
	v_fmac_f16_e32 v19, 0x38b4, v49
	v_mul_f16_e32 v13, 0xbb9c, v26
	v_mul_f16_e32 v23, 0x3b9c, v16
	v_fmac_f16_e32 v59, 0x38b4, v52
	v_fmac_f16_e32 v24, 0xb8b4, v49
	v_mul_f16_e32 v10, 0x3a79, v53
	v_mul_f16_e32 v11, 0x34f2, v12
	;; [unrolled: 1-line block ×3, first 2 shown]
	v_fmac_f16_e32 v56, 0x34f2, v1
	v_fmac_f16_e32 v14, 0x34f2, v1
	v_sub_f16_e32 v1, v18, v3
	v_fmac_f16_e32 v21, 0xb8b4, v31
	v_add_f16_e32 v3, v18, v3
	v_mul_f16_e32 v18, 0x3a79, v47
	v_fmac_f16_e32 v57, 0x34f2, v51
	v_sub_f16_e32 v28, v2, v0
	v_add_f16_e32 v0, v2, v0
	v_fmac_f16_e32 v15, 0x3a79, v29
	v_fmac_f16_e32 v25, 0x3a79, v17
	;; [unrolled: 1-line block ×8, first 2 shown]
	v_fma_f16 v2, v47, 0xb8b4, -v10
	v_fma_f16 v10, v22, 0xbb9c, -v11
	;; [unrolled: 1-line block ×3, first 2 shown]
	v_fmac_f16_e32 v21, 0x34f2, v51
	v_fma_f16 v11, v53, 0x38b4, -v18
	v_pack_b32_f16 v0, v0, v3
	v_sub_f16_e32 v18, v14, v15
	v_add_f16_e32 v14, v14, v15
	v_add_f16_e32 v15, v57, v25
	v_sub_f16_e32 v17, v27, v13
	v_sub_f16_e32 v26, v19, v23
	v_add_f16_e32 v13, v27, v13
	v_add_f16_e32 v19, v19, v23
	v_sub_f16_e32 v16, v59, v10
	;; [unrolled: 4-line block ×3, first 2 shown]
	v_sub_f16_e32 v20, v21, v11
	v_add_f16_e32 v2, v56, v2
	v_add_f16_e32 v11, v21, v11
	v_pack_b32_f16 v1, v28, v1
	v_sub_f16_e32 v28, v57, v25
	global_store_dword v[4:5], v0, off
	v_pack_b32_f16 v0, v15, v14
	v_pack_b32_f16 v4, v19, v13
	;; [unrolled: 1-line block ×8, first 2 shown]
	global_store_dword v[6:7], v0, off
	global_store_dword v[8:9], v4, off
	;; [unrolled: 1-line block ×9, first 2 shown]
	s_endpgm
	.section	.rodata,"a",@progbits
	.p2align	6, 0x0
	.amdhsa_kernel fft_rtc_fwd_len500_factors_10_5_10_wgs_100_tpt_100_halfLds_half_op_CI_CI_sbrr_dirReg
		.amdhsa_group_segment_fixed_size 0
		.amdhsa_private_segment_fixed_size 0
		.amdhsa_kernarg_size 104
		.amdhsa_user_sgpr_count 6
		.amdhsa_user_sgpr_private_segment_buffer 1
		.amdhsa_user_sgpr_dispatch_ptr 0
		.amdhsa_user_sgpr_queue_ptr 0
		.amdhsa_user_sgpr_kernarg_segment_ptr 1
		.amdhsa_user_sgpr_dispatch_id 0
		.amdhsa_user_sgpr_flat_scratch_init 0
		.amdhsa_user_sgpr_private_segment_size 0
		.amdhsa_wavefront_size32 1
		.amdhsa_uses_dynamic_stack 0
		.amdhsa_system_sgpr_private_segment_wavefront_offset 0
		.amdhsa_system_sgpr_workgroup_id_x 1
		.amdhsa_system_sgpr_workgroup_id_y 0
		.amdhsa_system_sgpr_workgroup_id_z 0
		.amdhsa_system_sgpr_workgroup_info 0
		.amdhsa_system_vgpr_workitem_id 0
		.amdhsa_next_free_vgpr 60
		.amdhsa_next_free_sgpr 31
		.amdhsa_reserve_vcc 1
		.amdhsa_reserve_flat_scratch 0
		.amdhsa_float_round_mode_32 0
		.amdhsa_float_round_mode_16_64 0
		.amdhsa_float_denorm_mode_32 3
		.amdhsa_float_denorm_mode_16_64 3
		.amdhsa_dx10_clamp 1
		.amdhsa_ieee_mode 1
		.amdhsa_fp16_overflow 0
		.amdhsa_workgroup_processor_mode 1
		.amdhsa_memory_ordered 1
		.amdhsa_forward_progress 0
		.amdhsa_shared_vgpr_count 0
		.amdhsa_exception_fp_ieee_invalid_op 0
		.amdhsa_exception_fp_denorm_src 0
		.amdhsa_exception_fp_ieee_div_zero 0
		.amdhsa_exception_fp_ieee_overflow 0
		.amdhsa_exception_fp_ieee_underflow 0
		.amdhsa_exception_fp_ieee_inexact 0
		.amdhsa_exception_int_div_zero 0
	.end_amdhsa_kernel
	.text
.Lfunc_end0:
	.size	fft_rtc_fwd_len500_factors_10_5_10_wgs_100_tpt_100_halfLds_half_op_CI_CI_sbrr_dirReg, .Lfunc_end0-fft_rtc_fwd_len500_factors_10_5_10_wgs_100_tpt_100_halfLds_half_op_CI_CI_sbrr_dirReg
                                        ; -- End function
	.section	.AMDGPU.csdata,"",@progbits
; Kernel info:
; codeLenInByte = 6012
; NumSgprs: 33
; NumVgprs: 60
; ScratchSize: 0
; MemoryBound: 0
; FloatMode: 240
; IeeeMode: 1
; LDSByteSize: 0 bytes/workgroup (compile time only)
; SGPRBlocks: 4
; VGPRBlocks: 7
; NumSGPRsForWavesPerEU: 33
; NumVGPRsForWavesPerEU: 60
; Occupancy: 16
; WaveLimiterHint : 1
; COMPUTE_PGM_RSRC2:SCRATCH_EN: 0
; COMPUTE_PGM_RSRC2:USER_SGPR: 6
; COMPUTE_PGM_RSRC2:TRAP_HANDLER: 0
; COMPUTE_PGM_RSRC2:TGID_X_EN: 1
; COMPUTE_PGM_RSRC2:TGID_Y_EN: 0
; COMPUTE_PGM_RSRC2:TGID_Z_EN: 0
; COMPUTE_PGM_RSRC2:TIDIG_COMP_CNT: 0
	.text
	.p2alignl 6, 3214868480
	.fill 48, 4, 3214868480
	.type	__hip_cuid_1ea662581467977d,@object ; @__hip_cuid_1ea662581467977d
	.section	.bss,"aw",@nobits
	.globl	__hip_cuid_1ea662581467977d
__hip_cuid_1ea662581467977d:
	.byte	0                               ; 0x0
	.size	__hip_cuid_1ea662581467977d, 1

	.ident	"AMD clang version 19.0.0git (https://github.com/RadeonOpenCompute/llvm-project roc-6.4.0 25133 c7fe45cf4b819c5991fe208aaa96edf142730f1d)"
	.section	".note.GNU-stack","",@progbits
	.addrsig
	.addrsig_sym __hip_cuid_1ea662581467977d
	.amdgpu_metadata
---
amdhsa.kernels:
  - .args:
      - .actual_access:  read_only
        .address_space:  global
        .offset:         0
        .size:           8
        .value_kind:     global_buffer
      - .offset:         8
        .size:           8
        .value_kind:     by_value
      - .actual_access:  read_only
        .address_space:  global
        .offset:         16
        .size:           8
        .value_kind:     global_buffer
      - .actual_access:  read_only
        .address_space:  global
        .offset:         24
        .size:           8
        .value_kind:     global_buffer
      - .actual_access:  read_only
        .address_space:  global
        .offset:         32
        .size:           8
        .value_kind:     global_buffer
      - .offset:         40
        .size:           8
        .value_kind:     by_value
      - .actual_access:  read_only
        .address_space:  global
        .offset:         48
        .size:           8
        .value_kind:     global_buffer
      - .actual_access:  read_only
        .address_space:  global
        .offset:         56
        .size:           8
        .value_kind:     global_buffer
      - .offset:         64
        .size:           4
        .value_kind:     by_value
      - .actual_access:  read_only
        .address_space:  global
        .offset:         72
        .size:           8
        .value_kind:     global_buffer
      - .actual_access:  read_only
        .address_space:  global
        .offset:         80
        .size:           8
        .value_kind:     global_buffer
      - .actual_access:  read_only
        .address_space:  global
        .offset:         88
        .size:           8
        .value_kind:     global_buffer
      - .actual_access:  write_only
        .address_space:  global
        .offset:         96
        .size:           8
        .value_kind:     global_buffer
    .group_segment_fixed_size: 0
    .kernarg_segment_align: 8
    .kernarg_segment_size: 104
    .language:       OpenCL C
    .language_version:
      - 2
      - 0
    .max_flat_workgroup_size: 100
    .name:           fft_rtc_fwd_len500_factors_10_5_10_wgs_100_tpt_100_halfLds_half_op_CI_CI_sbrr_dirReg
    .private_segment_fixed_size: 0
    .sgpr_count:     33
    .sgpr_spill_count: 0
    .symbol:         fft_rtc_fwd_len500_factors_10_5_10_wgs_100_tpt_100_halfLds_half_op_CI_CI_sbrr_dirReg.kd
    .uniform_work_group_size: 1
    .uses_dynamic_stack: false
    .vgpr_count:     60
    .vgpr_spill_count: 0
    .wavefront_size: 32
    .workgroup_processor_mode: 1
amdhsa.target:   amdgcn-amd-amdhsa--gfx1030
amdhsa.version:
  - 1
  - 2
...

	.end_amdgpu_metadata
